;; amdgpu-corpus repo=ROCm/rocFFT kind=compiled arch=gfx906 opt=O3
	.text
	.amdgcn_target "amdgcn-amd-amdhsa--gfx906"
	.amdhsa_code_object_version 6
	.protected	fft_rtc_back_len220_factors_10_2_11_wgs_110_tpt_22_dp_op_CI_CI_unitstride_sbrr_R2C_dirReg ; -- Begin function fft_rtc_back_len220_factors_10_2_11_wgs_110_tpt_22_dp_op_CI_CI_unitstride_sbrr_R2C_dirReg
	.globl	fft_rtc_back_len220_factors_10_2_11_wgs_110_tpt_22_dp_op_CI_CI_unitstride_sbrr_R2C_dirReg
	.p2align	8
	.type	fft_rtc_back_len220_factors_10_2_11_wgs_110_tpt_22_dp_op_CI_CI_unitstride_sbrr_R2C_dirReg,@function
fft_rtc_back_len220_factors_10_2_11_wgs_110_tpt_22_dp_op_CI_CI_unitstride_sbrr_R2C_dirReg: ; @fft_rtc_back_len220_factors_10_2_11_wgs_110_tpt_22_dp_op_CI_CI_unitstride_sbrr_R2C_dirReg
; %bb.0:
	s_load_dwordx4 s[8:11], s[4:5], 0x58
	s_load_dwordx4 s[12:15], s[4:5], 0x0
	;; [unrolled: 1-line block ×3, first 2 shown]
	v_mul_u32_u24_e32 v1, 0xba3, v0
	v_lshrrev_b32_e32 v1, 16, v1
	v_mad_u64_u32 v[3:4], s[0:1], s6, 5, v[1:2]
	v_mov_b32_e32 v5, 0
	v_mov_b32_e32 v1, 0
	;; [unrolled: 1-line block ×3, first 2 shown]
	s_waitcnt lgkmcnt(0)
	v_cmp_lt_u64_e64 s[0:1], s[14:15], 2
	v_mov_b32_e32 v2, 0
	v_mov_b32_e32 v45, v2
	;; [unrolled: 1-line block ×3, first 2 shown]
	s_and_b64 vcc, exec, s[0:1]
	v_mov_b32_e32 v44, v1
	v_mov_b32_e32 v46, v3
	s_cbranch_vccnz .LBB0_8
; %bb.1:
	s_load_dwordx2 s[0:1], s[4:5], 0x10
	s_add_u32 s2, s18, 8
	s_addc_u32 s3, s19, 0
	s_add_u32 s6, s16, 8
	v_mov_b32_e32 v1, 0
	s_addc_u32 s7, s17, 0
	v_mov_b32_e32 v2, 0
	s_waitcnt lgkmcnt(0)
	s_add_u32 s20, s0, 8
	v_mov_b32_e32 v45, v2
	v_mov_b32_e32 v8, v4
	s_addc_u32 s21, s1, 0
	s_mov_b64 s[22:23], 1
	v_mov_b32_e32 v44, v1
	v_mov_b32_e32 v7, v3
.LBB0_2:                                ; =>This Inner Loop Header: Depth=1
	s_load_dwordx2 s[24:25], s[20:21], 0x0
                                        ; implicit-def: $vgpr46_vgpr47
	s_waitcnt lgkmcnt(0)
	v_or_b32_e32 v6, s25, v8
	v_cmp_ne_u64_e32 vcc, 0, v[5:6]
	s_and_saveexec_b64 s[0:1], vcc
	s_xor_b64 s[26:27], exec, s[0:1]
	s_cbranch_execz .LBB0_4
; %bb.3:                                ;   in Loop: Header=BB0_2 Depth=1
	v_cvt_f32_u32_e32 v4, s24
	v_cvt_f32_u32_e32 v6, s25
	s_sub_u32 s0, 0, s24
	s_subb_u32 s1, 0, s25
	v_mac_f32_e32 v4, 0x4f800000, v6
	v_rcp_f32_e32 v4, v4
	v_mul_f32_e32 v4, 0x5f7ffffc, v4
	v_mul_f32_e32 v6, 0x2f800000, v4
	v_trunc_f32_e32 v6, v6
	v_mac_f32_e32 v4, 0xcf800000, v6
	v_cvt_u32_f32_e32 v6, v6
	v_cvt_u32_f32_e32 v4, v4
	v_mul_lo_u32 v9, s0, v6
	v_mul_hi_u32 v10, s0, v4
	v_mul_lo_u32 v12, s1, v4
	v_mul_lo_u32 v11, s0, v4
	v_add_u32_e32 v9, v10, v9
	v_add_u32_e32 v9, v9, v12
	v_mul_hi_u32 v10, v4, v11
	v_mul_lo_u32 v12, v4, v9
	v_mul_hi_u32 v14, v4, v9
	v_mul_hi_u32 v13, v6, v11
	v_mul_lo_u32 v11, v6, v11
	v_mul_hi_u32 v15, v6, v9
	v_add_co_u32_e32 v10, vcc, v10, v12
	v_addc_co_u32_e32 v12, vcc, 0, v14, vcc
	v_mul_lo_u32 v9, v6, v9
	v_add_co_u32_e32 v10, vcc, v10, v11
	v_addc_co_u32_e32 v10, vcc, v12, v13, vcc
	v_addc_co_u32_e32 v11, vcc, 0, v15, vcc
	v_add_co_u32_e32 v9, vcc, v10, v9
	v_addc_co_u32_e32 v10, vcc, 0, v11, vcc
	v_add_co_u32_e32 v4, vcc, v4, v9
	v_addc_co_u32_e32 v6, vcc, v6, v10, vcc
	v_mul_lo_u32 v9, s0, v6
	v_mul_hi_u32 v10, s0, v4
	v_mul_lo_u32 v11, s1, v4
	v_mul_lo_u32 v12, s0, v4
	v_add_u32_e32 v9, v10, v9
	v_add_u32_e32 v9, v9, v11
	v_mul_lo_u32 v13, v4, v9
	v_mul_hi_u32 v14, v4, v12
	v_mul_hi_u32 v15, v4, v9
	;; [unrolled: 1-line block ×3, first 2 shown]
	v_mul_lo_u32 v12, v6, v12
	v_mul_hi_u32 v10, v6, v9
	v_add_co_u32_e32 v13, vcc, v14, v13
	v_addc_co_u32_e32 v14, vcc, 0, v15, vcc
	v_mul_lo_u32 v9, v6, v9
	v_add_co_u32_e32 v12, vcc, v13, v12
	v_addc_co_u32_e32 v11, vcc, v14, v11, vcc
	v_addc_co_u32_e32 v10, vcc, 0, v10, vcc
	v_add_co_u32_e32 v9, vcc, v11, v9
	v_addc_co_u32_e32 v10, vcc, 0, v10, vcc
	v_add_co_u32_e32 v4, vcc, v4, v9
	v_addc_co_u32_e32 v6, vcc, v6, v10, vcc
	v_mad_u64_u32 v[9:10], s[0:1], v7, v6, 0
	v_mul_hi_u32 v11, v7, v4
	v_add_co_u32_e32 v13, vcc, v11, v9
	v_addc_co_u32_e32 v14, vcc, 0, v10, vcc
	v_mad_u64_u32 v[9:10], s[0:1], v8, v4, 0
	v_mad_u64_u32 v[11:12], s[0:1], v8, v6, 0
	v_add_co_u32_e32 v4, vcc, v13, v9
	v_addc_co_u32_e32 v4, vcc, v14, v10, vcc
	v_addc_co_u32_e32 v6, vcc, 0, v12, vcc
	v_add_co_u32_e32 v4, vcc, v4, v11
	v_addc_co_u32_e32 v6, vcc, 0, v6, vcc
	v_mul_lo_u32 v11, s25, v4
	v_mul_lo_u32 v12, s24, v6
	v_mad_u64_u32 v[9:10], s[0:1], s24, v4, 0
	v_add3_u32 v10, v10, v12, v11
	v_sub_u32_e32 v11, v8, v10
	v_mov_b32_e32 v12, s25
	v_sub_co_u32_e32 v9, vcc, v7, v9
	v_subb_co_u32_e64 v11, s[0:1], v11, v12, vcc
	v_subrev_co_u32_e64 v12, s[0:1], s24, v9
	v_subbrev_co_u32_e64 v11, s[0:1], 0, v11, s[0:1]
	v_cmp_le_u32_e64 s[0:1], s25, v11
	v_cndmask_b32_e64 v13, 0, -1, s[0:1]
	v_cmp_le_u32_e64 s[0:1], s24, v12
	v_cndmask_b32_e64 v12, 0, -1, s[0:1]
	v_cmp_eq_u32_e64 s[0:1], s25, v11
	v_cndmask_b32_e64 v11, v13, v12, s[0:1]
	v_add_co_u32_e64 v12, s[0:1], 2, v4
	v_addc_co_u32_e64 v13, s[0:1], 0, v6, s[0:1]
	v_add_co_u32_e64 v14, s[0:1], 1, v4
	v_addc_co_u32_e64 v15, s[0:1], 0, v6, s[0:1]
	v_subb_co_u32_e32 v10, vcc, v8, v10, vcc
	v_cmp_ne_u32_e64 s[0:1], 0, v11
	v_cmp_le_u32_e32 vcc, s25, v10
	v_cndmask_b32_e64 v11, v15, v13, s[0:1]
	v_cndmask_b32_e64 v13, 0, -1, vcc
	v_cmp_le_u32_e32 vcc, s24, v9
	v_cndmask_b32_e64 v9, 0, -1, vcc
	v_cmp_eq_u32_e32 vcc, s25, v10
	v_cndmask_b32_e32 v9, v13, v9, vcc
	v_cmp_ne_u32_e32 vcc, 0, v9
	v_cndmask_b32_e32 v47, v6, v11, vcc
	v_cndmask_b32_e64 v6, v14, v12, s[0:1]
	v_cndmask_b32_e32 v46, v4, v6, vcc
.LBB0_4:                                ;   in Loop: Header=BB0_2 Depth=1
	s_andn2_saveexec_b64 s[0:1], s[26:27]
	s_cbranch_execz .LBB0_6
; %bb.5:                                ;   in Loop: Header=BB0_2 Depth=1
	v_cvt_f32_u32_e32 v4, s24
	s_sub_i32 s26, 0, s24
	v_mov_b32_e32 v47, v5
	v_rcp_iflag_f32_e32 v4, v4
	v_mul_f32_e32 v4, 0x4f7ffffe, v4
	v_cvt_u32_f32_e32 v4, v4
	v_mul_lo_u32 v6, s26, v4
	v_mul_hi_u32 v6, v4, v6
	v_add_u32_e32 v4, v4, v6
	v_mul_hi_u32 v4, v7, v4
	v_mul_lo_u32 v6, v4, s24
	v_add_u32_e32 v9, 1, v4
	v_sub_u32_e32 v6, v7, v6
	v_subrev_u32_e32 v10, s24, v6
	v_cmp_le_u32_e32 vcc, s24, v6
	v_cndmask_b32_e32 v6, v6, v10, vcc
	v_cndmask_b32_e32 v4, v4, v9, vcc
	v_add_u32_e32 v9, 1, v4
	v_cmp_le_u32_e32 vcc, s24, v6
	v_cndmask_b32_e32 v46, v4, v9, vcc
.LBB0_6:                                ;   in Loop: Header=BB0_2 Depth=1
	s_or_b64 exec, exec, s[0:1]
	v_mul_lo_u32 v4, v47, s24
	v_mul_lo_u32 v6, v46, s25
	v_mad_u64_u32 v[9:10], s[0:1], v46, s24, 0
	s_load_dwordx2 s[0:1], s[6:7], 0x0
	s_load_dwordx2 s[24:25], s[2:3], 0x0
	v_add3_u32 v4, v10, v6, v4
	v_sub_co_u32_e32 v6, vcc, v7, v9
	v_subb_co_u32_e32 v4, vcc, v8, v4, vcc
	s_waitcnt lgkmcnt(0)
	v_mul_lo_u32 v7, s0, v4
	v_mul_lo_u32 v8, s1, v6
	v_mad_u64_u32 v[1:2], s[0:1], s0, v6, v[1:2]
	s_add_u32 s22, s22, 1
	s_addc_u32 s23, s23, 0
	s_add_u32 s2, s2, 8
	v_mul_lo_u32 v4, s24, v4
	v_mul_lo_u32 v9, s25, v6
	v_mad_u64_u32 v[44:45], s[0:1], s24, v6, v[44:45]
	v_add3_u32 v2, v8, v2, v7
	s_addc_u32 s3, s3, 0
	v_mov_b32_e32 v6, s14
	s_add_u32 s6, s6, 8
	v_mov_b32_e32 v7, s15
	s_addc_u32 s7, s7, 0
	v_cmp_ge_u64_e32 vcc, s[22:23], v[6:7]
	s_add_u32 s20, s20, 8
	v_add3_u32 v45, v9, v45, v4
	s_addc_u32 s21, s21, 0
	s_cbranch_vccnz .LBB0_8
; %bb.7:                                ;   in Loop: Header=BB0_2 Depth=1
	v_mov_b32_e32 v7, v46
	v_mov_b32_e32 v8, v47
	s_branch .LBB0_2
.LBB0_8:
	s_mov_b32 s2, 0xcccccccd
	s_load_dwordx2 s[0:1], s[4:5], 0x28
	v_mul_hi_u32 v4, v3, s2
	s_lshl_b64 s[6:7], s[14:15], 3
	s_add_u32 s2, s18, s6
	s_addc_u32 s3, s19, s7
	v_lshrrev_b32_e32 v4, 2, v4
	v_lshl_add_u32 v4, v4, 2, v4
	s_waitcnt lgkmcnt(0)
	v_cmp_gt_u64_e32 vcc, s[0:1], v[46:47]
	v_cmp_le_u64_e64 s[0:1], s[0:1], v[46:47]
	v_sub_u32_e32 v3, v3, v4
                                        ; implicit-def: $vgpr48
                                        ; implicit-def: $vgpr50
                                        ; implicit-def: $vgpr54
                                        ; implicit-def: $vgpr53
                                        ; implicit-def: $vgpr52
	s_and_saveexec_b64 s[4:5], s[0:1]
	s_xor_b64 s[0:1], exec, s[4:5]
; %bb.9:
	s_mov_b32 s4, 0xba2e8bb
	v_mul_hi_u32 v1, v0, s4
	v_mul_u32_u24_e32 v1, 22, v1
	v_sub_u32_e32 v48, v0, v1
	v_add_u32_e32 v50, 22, v48
	v_add_u32_e32 v54, 44, v48
	;; [unrolled: 1-line block ×4, first 2 shown]
                                        ; implicit-def: $vgpr0
                                        ; implicit-def: $vgpr1_vgpr2
; %bb.10:
	s_or_saveexec_b64 s[4:5], s[0:1]
	v_mul_u32_u24_e32 v3, 0xdd, v3
	v_lshlrev_b32_e32 v40, 4, v3
	s_xor_b64 exec, exec, s[4:5]
	s_cbranch_execz .LBB0_12
; %bb.11:
	s_add_u32 s0, s16, s6
	s_addc_u32 s1, s17, s7
	s_load_dwordx2 s[0:1], s[0:1], 0x0
	s_mov_b32 s6, 0xba2e8bb
	v_mul_hi_u32 v5, v0, s6
	s_waitcnt lgkmcnt(0)
	v_mul_lo_u32 v6, s1, v46
	v_mul_lo_u32 v7, s0, v47
	v_mad_u64_u32 v[3:4], s[0:1], s0, v46, 0
	v_mul_u32_u24_e32 v5, 22, v5
	v_sub_u32_e32 v48, v0, v5
	v_add3_u32 v4, v4, v7, v6
	v_lshlrev_b64 v[3:4], 4, v[3:4]
	v_mov_b32_e32 v0, s9
	v_add_co_u32_e64 v3, s[0:1], s8, v3
	v_addc_co_u32_e64 v4, s[0:1], v0, v4, s[0:1]
	v_lshlrev_b64 v[0:1], 4, v[1:2]
	v_lshlrev_b32_e32 v43, 4, v48
	v_add_co_u32_e64 v0, s[0:1], v3, v0
	v_addc_co_u32_e64 v1, s[0:1], v4, v1, s[0:1]
	v_add_co_u32_e64 v41, s[0:1], v0, v43
	v_addc_co_u32_e64 v42, s[0:1], 0, v1, s[0:1]
	global_load_dwordx4 v[0:3], v[41:42], off
	global_load_dwordx4 v[4:7], v[41:42], off offset:352
	global_load_dwordx4 v[8:11], v[41:42], off offset:704
	;; [unrolled: 1-line block ×9, first 2 shown]
	v_add_u32_e32 v50, 22, v48
	v_add_u32_e32 v54, 44, v48
	;; [unrolled: 1-line block ×4, first 2 shown]
	v_add3_u32 v41, 0, v40, v43
	s_waitcnt vmcnt(9)
	ds_write_b128 v41, v[0:3]
	s_waitcnt vmcnt(8)
	ds_write_b128 v41, v[4:7] offset:352
	s_waitcnt vmcnt(7)
	ds_write_b128 v41, v[8:11] offset:704
	;; [unrolled: 2-line block ×9, first 2 shown]
.LBB0_12:
	s_or_b64 exec, exec, s[4:5]
	v_lshlrev_b32_e32 v49, 4, v48
	v_add_u32_e32 v95, 0, v40
	v_add3_u32 v51, 0, v49, v40
	s_load_dwordx2 s[2:3], s[2:3], 0x0
	s_waitcnt lgkmcnt(0)
	s_barrier
	v_add_u32_e32 v96, v95, v49
	ds_read_b128 v[0:3], v51 offset:704
	ds_read_b128 v[4:7], v96
	ds_read_b128 v[8:11], v51 offset:352
	ds_read_b128 v[12:15], v51 offset:1056
	;; [unrolled: 1-line block ×6, first 2 shown]
	s_mov_b32 s4, 0x134454ff
	s_waitcnt lgkmcnt(6)
	v_add_f64 v[32:33], v[4:5], v[0:1]
	s_waitcnt lgkmcnt(2)
	v_add_f64 v[41:42], v[20:21], v[16:17]
	v_add_f64 v[63:64], v[0:1], -v[20:21]
	s_mov_b32 s5, 0xbfee6f0e
	s_mov_b32 s1, 0x3fee6f0e
	;; [unrolled: 1-line block ×3, first 2 shown]
	v_add_f64 v[59:60], v[22:23], -v[18:19]
	s_mov_b32 s6, 0x4755a5e
	v_add_f64 v[55:56], v[32:33], v[20:21]
	ds_read_b128 v[32:35], v51 offset:2816
	ds_read_b128 v[36:39], v51 offset:3168
	v_fma_f64 v[41:42], v[41:42], -0.5, v[4:5]
	s_mov_b32 s7, 0xbfe2cf23
	s_mov_b32 s9, 0x3fe2cf23
	s_waitcnt lgkmcnt(1)
	v_add_f64 v[57:58], v[2:3], -v[34:35]
	v_add_f64 v[61:62], v[0:1], v[32:33]
	v_add_f64 v[65:66], v[32:33], -v[16:17]
	s_mov_b32 s8, s6
	v_add_f64 v[55:56], v[55:56], v[16:17]
	v_add_f64 v[69:70], v[20:21], -v[0:1]
	v_add_f64 v[71:72], v[16:17], -v[32:33]
	v_add_f64 v[73:74], v[6:7], v[2:3]
	v_fma_f64 v[67:68], v[57:58], s[4:5], v[41:42]
	v_fma_f64 v[41:42], v[57:58], s[0:1], v[41:42]
	v_fma_f64 v[4:5], v[61:62], -0.5, v[4:5]
	v_add_f64 v[63:64], v[63:64], v[65:66]
	v_add_f64 v[65:66], v[22:23], v[18:19]
	v_add_f64 v[0:1], v[0:1], -v[32:33]
	s_mov_b32 s14, 0x372fe950
	s_mov_b32 s15, 0x3fd3c6ef
	v_fma_f64 v[61:62], v[59:60], s[6:7], v[67:68]
	v_fma_f64 v[41:42], v[59:60], s[8:9], v[41:42]
	;; [unrolled: 1-line block ×3, first 2 shown]
	v_add_f64 v[55:56], v[55:56], v[32:33]
	v_fma_f64 v[65:66], v[65:66], -0.5, v[6:7]
	v_fma_f64 v[4:5], v[59:60], s[4:5], v[4:5]
	v_add_f64 v[59:60], v[73:74], v[22:23]
	v_add_f64 v[16:17], v[20:21], -v[16:17]
	v_fma_f64 v[32:33], v[63:64], s[14:15], v[61:62]
	v_fma_f64 v[41:42], v[63:64], s[14:15], v[41:42]
	v_fma_f64 v[61:62], v[57:58], s[6:7], v[67:68]
	v_add_f64 v[63:64], v[69:70], v[71:72]
	v_fma_f64 v[67:68], v[0:1], s[0:1], v[65:66]
	v_add_f64 v[20:21], v[2:3], -v[22:23]
	v_add_f64 v[69:70], v[34:35], -v[18:19]
	v_fma_f64 v[65:66], v[0:1], s[4:5], v[65:66]
	v_add_f64 v[71:72], v[2:3], v[34:35]
	v_fma_f64 v[4:5], v[57:58], s[8:9], v[4:5]
	v_add_f64 v[57:58], v[59:60], v[18:19]
	;; [unrolled: 2-line block ×4, first 2 shown]
	v_fma_f64 v[65:66], v[16:17], s[6:7], v[65:66]
	v_fma_f64 v[6:7], v[71:72], -0.5, v[6:7]
	v_fma_f64 v[63:64], v[63:64], s[14:15], v[4:5]
	v_add_f64 v[4:5], v[8:9], v[12:13]
	s_waitcnt lgkmcnt(0)
	v_add_f64 v[69:70], v[14:15], -v[38:39]
	v_fma_f64 v[61:62], v[61:62], -0.5, v[8:9]
	v_add_f64 v[2:3], v[22:23], -v[2:3]
	v_fma_f64 v[67:68], v[20:21], s[14:15], v[67:68]
	v_fma_f64 v[65:66], v[20:21], s[14:15], v[65:66]
	;; [unrolled: 1-line block ×3, first 2 shown]
	v_add_f64 v[18:19], v[18:19], -v[34:35]
	v_fma_f64 v[6:7], v[16:17], s[0:1], v[6:7]
	v_add_f64 v[57:58], v[57:58], v[34:35]
	v_add_f64 v[4:5], v[4:5], v[24:25]
	v_fma_f64 v[16:17], v[69:70], s[4:5], v[61:62]
	v_add_f64 v[22:23], v[26:27], -v[30:31]
	v_add_f64 v[34:35], v[12:13], -v[24:25]
	;; [unrolled: 1-line block ×3, first 2 shown]
	v_add_f64 v[73:74], v[12:13], v[36:37]
	v_fma_f64 v[20:21], v[0:1], s[8:9], v[20:21]
	v_add_f64 v[75:76], v[26:27], v[30:31]
	v_add_f64 v[2:3], v[2:3], v[18:19]
	v_fma_f64 v[0:1], v[0:1], s[6:7], v[6:7]
	v_add_f64 v[4:5], v[4:5], v[28:29]
	v_fma_f64 v[6:7], v[22:23], s[6:7], v[16:17]
	v_add_f64 v[16:17], v[34:35], v[71:72]
	v_fma_f64 v[8:9], v[73:74], -0.5, v[8:9]
	v_fma_f64 v[18:19], v[69:70], s[0:1], v[61:62]
	v_fma_f64 v[34:35], v[75:76], -0.5, v[10:11]
	v_add_f64 v[61:62], v[12:13], -v[36:37]
	v_fma_f64 v[73:74], v[2:3], s[14:15], v[0:1]
	v_add_f64 v[0:1], v[14:15], v[38:39]
	v_fma_f64 v[71:72], v[2:3], s[14:15], v[20:21]
	v_add_f64 v[20:21], v[4:5], v[36:37]
	v_fma_f64 v[4:5], v[16:17], s[14:15], v[6:7]
	v_fma_f64 v[6:7], v[22:23], s[8:9], v[18:19]
	v_add_f64 v[75:76], v[24:25], -v[28:29]
	v_fma_f64 v[18:19], v[61:62], s[0:1], v[34:35]
	v_add_f64 v[77:78], v[14:15], -v[26:27]
	v_add_f64 v[79:80], v[38:39], -v[30:31]
	v_fma_f64 v[0:1], v[0:1], -0.5, v[10:11]
	v_add_f64 v[10:11], v[10:11], v[14:15]
	v_fma_f64 v[2:3], v[22:23], s[0:1], v[8:9]
	v_add_f64 v[12:13], v[24:25], -v[12:13]
	v_add_f64 v[24:25], v[28:29], -v[36:37]
	v_fma_f64 v[8:9], v[22:23], s[4:5], v[8:9]
	v_fma_f64 v[18:19], v[75:76], s[8:9], v[18:19]
	v_add_f64 v[22:23], v[77:78], v[79:80]
	v_fma_f64 v[28:29], v[75:76], s[4:5], v[0:1]
	v_add_f64 v[14:15], v[26:27], -v[14:15]
	v_add_f64 v[36:37], v[30:31], -v[38:39]
	v_fma_f64 v[0:1], v[75:76], s[0:1], v[0:1]
	v_add_f64 v[10:11], v[10:11], v[26:27]
	v_fma_f64 v[26:27], v[61:62], s[4:5], v[34:35]
	v_fma_f64 v[2:3], v[69:70], s[6:7], v[2:3]
	v_add_f64 v[12:13], v[12:13], v[24:25]
	v_fma_f64 v[8:9], v[69:70], s[8:9], v[8:9]
	v_fma_f64 v[18:19], v[22:23], s[14:15], v[18:19]
	;; [unrolled: 1-line block ×3, first 2 shown]
	v_add_f64 v[14:15], v[14:15], v[36:37]
	v_fma_f64 v[0:1], v[61:62], s[6:7], v[0:1]
	v_add_f64 v[10:11], v[10:11], v[30:31]
	v_fma_f64 v[26:27], v[75:76], s[6:7], v[26:27]
	v_fma_f64 v[6:7], v[16:17], s[14:15], v[6:7]
	v_fma_f64 v[2:3], v[12:13], s[14:15], v[2:3]
	v_fma_f64 v[8:9], v[12:13], s[14:15], v[8:9]
	v_mul_f64 v[12:13], v[18:19], s[6:7]
	v_fma_f64 v[16:17], v[14:15], s[14:15], v[24:25]
	v_fma_f64 v[14:15], v[14:15], s[14:15], v[0:1]
	v_add_f64 v[30:31], v[10:11], v[38:39]
	v_fma_f64 v[10:11], v[22:23], s[14:15], v[26:27]
	s_mov_b32 s16, 0x9b97f4a8
	s_mov_b32 s17, 0x3fe9e377
	v_mul_f64 v[28:29], v[4:5], s[8:9]
	v_fma_f64 v[22:23], v[4:5], s[16:17], v[12:13]
	v_mul_f64 v[12:13], v[16:17], s[4:5]
	v_mul_f64 v[24:25], v[14:15], s[4:5]
	s_mov_b32 s5, 0xbfd3c6ef
	s_mov_b32 s4, s14
	v_mul_f64 v[16:17], v[16:17], s[14:15]
	v_mul_f64 v[26:27], v[10:11], s[6:7]
	s_mov_b32 s7, 0xbfe9e377
	s_mov_b32 s6, s16
	v_mul_f64 v[14:15], v[14:15], s[4:5]
	v_mul_f64 v[10:11], v[10:11], s[6:7]
	v_fma_f64 v[38:39], v[18:19], s[16:17], v[28:29]
	v_fma_f64 v[34:35], v[2:3], s[14:15], v[12:13]
	;; [unrolled: 1-line block ×5, first 2 shown]
	v_add_f64 v[0:1], v[55:56], v[20:21]
	v_fma_f64 v[69:70], v[8:9], s[0:1], v[14:15]
	v_fma_f64 v[75:76], v[6:7], s[8:9], v[10:11]
	v_add_f64 v[2:3], v[57:58], v[30:31]
	v_add_f64 v[4:5], v[32:33], v[22:23]
	;; [unrolled: 1-line block ×9, first 2 shown]
	v_add_f64 v[20:21], v[55:56], -v[20:21]
	v_add_f64 v[24:25], v[32:33], -v[22:23]
	;; [unrolled: 1-line block ×6, first 2 shown]
	s_movk_i32 s0, 0x90
	v_add_f64 v[28:29], v[59:60], -v[34:35]
	v_add_f64 v[30:31], v[71:72], -v[61:62]
	v_mad_u32_u24 v41, v48, s0, v51
	s_movk_i32 s0, 0xcd
	v_add_f64 v[34:35], v[73:74], -v[69:70]
	v_add_f64 v[38:39], v[65:66], -v[75:76]
	s_barrier
	ds_write_b128 v41, v[0:3]
	ds_write_b128 v41, v[4:7] offset:16
	ds_write_b128 v41, v[8:11] offset:32
	;; [unrolled: 1-line block ×9, first 2 shown]
	v_mul_lo_u16_sdwa v0, v48, s0 dst_sel:DWORD dst_unused:UNUSED_PAD src0_sel:BYTE_0 src1_sel:DWORD
	v_lshrrev_b16_e32 v43, 11, v0
	v_mul_lo_u16_e32 v0, 10, v43
	v_sub_u16_e32 v0, v48, v0
	v_mov_b32_e32 v16, 4
	v_lshlrev_b32_sdwa v77, v16, v0 dst_sel:DWORD dst_unused:UNUSED_PAD src0_sel:DWORD src1_sel:BYTE_0
	v_mul_lo_u16_sdwa v0, v50, s0 dst_sel:DWORD dst_unused:UNUSED_PAD src0_sel:BYTE_0 src1_sel:DWORD
	v_lshrrev_b16_e32 v78, 11, v0
	v_mul_lo_u16_e32 v0, 10, v78
	v_sub_u16_e32 v0, v50, v0
	s_waitcnt lgkmcnt(0)
	s_barrier
	v_lshlrev_b32_sdwa v79, v16, v0 dst_sel:DWORD dst_unused:UNUSED_PAD src0_sel:DWORD src1_sel:BYTE_0
	global_load_dwordx4 v[0:3], v77, s[12:13]
	global_load_dwordx4 v[4:7], v79, s[12:13]
	v_mul_lo_u16_sdwa v8, v54, s0 dst_sel:DWORD dst_unused:UNUSED_PAD src0_sel:BYTE_0 src1_sel:DWORD
	v_lshrrev_b16_e32 v80, 11, v8
	v_mul_lo_u16_e32 v8, 10, v80
	v_sub_u16_e32 v8, v54, v8
	v_lshlrev_b32_sdwa v81, v16, v8 dst_sel:DWORD dst_unused:UNUSED_PAD src0_sel:DWORD src1_sel:BYTE_0
	v_mul_lo_u16_sdwa v8, v53, s0 dst_sel:DWORD dst_unused:UNUSED_PAD src0_sel:BYTE_0 src1_sel:DWORD
	v_lshrrev_b16_e32 v82, 11, v8
	v_mul_lo_u16_e32 v8, 10, v82
	v_mul_lo_u16_sdwa v17, v52, s0 dst_sel:DWORD dst_unused:UNUSED_PAD src0_sel:BYTE_0 src1_sel:DWORD
	v_sub_u16_e32 v8, v53, v8
	v_lshrrev_b16_e32 v84, 11, v17
	v_lshlrev_b32_sdwa v83, v16, v8 dst_sel:DWORD dst_unused:UNUSED_PAD src0_sel:DWORD src1_sel:BYTE_0
	global_load_dwordx4 v[8:11], v81, s[12:13]
	global_load_dwordx4 v[12:15], v83, s[12:13]
	v_mul_lo_u16_e32 v17, 10, v84
	v_sub_u16_e32 v17, v52, v17
	v_lshlrev_b32_sdwa v85, v16, v17 dst_sel:DWORD dst_unused:UNUSED_PAD src0_sel:DWORD src1_sel:BYTE_0
	global_load_dwordx4 v[16:19], v85, s[12:13]
	ds_read_b128 v[20:23], v96
	ds_read_b128 v[24:27], v51 offset:1760
	v_lshl_add_u32 v100, v50, 4, v95
	v_lshl_add_u32 v99, v54, 4, v95
	ds_read_b128 v[28:31], v100
	ds_read_b128 v[32:35], v99
	ds_read_b128 v[36:39], v51 offset:2112
	ds_read_b128 v[55:58], v51 offset:2464
	v_lshl_add_u32 v98, v53, 4, v95
	v_lshl_add_u32 v97, v52, 4, v95
	ds_read_b128 v[59:62], v98
	ds_read_b128 v[63:66], v97
	ds_read_b128 v[67:70], v51 offset:2816
	ds_read_b128 v[71:74], v51 offset:3168
	s_movk_i32 s0, 0x140
	s_waitcnt vmcnt(0) lgkmcnt(0)
	s_barrier
	v_mul_f64 v[41:42], v[26:27], v[2:3]
	v_mul_f64 v[2:3], v[24:25], v[2:3]
	;; [unrolled: 1-line block ×4, first 2 shown]
	v_fma_f64 v[24:25], v[24:25], v[0:1], v[41:42]
	v_fma_f64 v[0:1], v[26:27], v[0:1], -v[2:3]
	v_fma_f64 v[26:27], v[36:37], v[4:5], v[75:76]
	v_fma_f64 v[36:37], v[38:39], v[4:5], -v[6:7]
	v_mul_f64 v[2:3], v[57:58], v[10:11]
	v_mul_f64 v[10:11], v[55:56], v[10:11]
	;; [unrolled: 1-line block ×4, first 2 shown]
	v_add_f64 v[4:5], v[20:21], -v[24:25]
	v_mul_f64 v[41:42], v[73:74], v[18:19]
	v_mul_f64 v[18:19], v[71:72], v[18:19]
	v_add_f64 v[6:7], v[22:23], -v[0:1]
	v_fma_f64 v[24:25], v[55:56], v[8:9], v[2:3]
	v_fma_f64 v[55:56], v[57:58], v[8:9], -v[10:11]
	v_fma_f64 v[38:39], v[67:68], v[12:13], v[38:39]
	v_fma_f64 v[12:13], v[69:70], v[12:13], -v[14:15]
	v_add_f64 v[8:9], v[28:29], -v[26:27]
	v_fma_f64 v[14:15], v[71:72], v[16:17], v[41:42]
	v_fma_f64 v[41:42], v[73:74], v[16:17], -v[18:19]
	v_add_f64 v[10:11], v[30:31], -v[36:37]
	v_add_f64 v[16:17], v[32:33], -v[24:25]
	;; [unrolled: 1-line block ×5, first 2 shown]
	v_fma_f64 v[0:1], v[20:21], 2.0, -v[4:5]
	v_fma_f64 v[2:3], v[22:23], 2.0, -v[6:7]
	v_add_f64 v[36:37], v[63:64], -v[14:15]
	v_add_f64 v[38:39], v[65:66], -v[41:42]
	v_fma_f64 v[12:13], v[28:29], 2.0, -v[8:9]
	v_fma_f64 v[14:15], v[30:31], 2.0, -v[10:11]
	;; [unrolled: 1-line block ×6, first 2 shown]
	v_mad_u32_u24 v41, v43, s0, 0
	v_add3_u32 v41, v41, v77, v40
	v_fma_f64 v[32:33], v[63:64], 2.0, -v[36:37]
	v_fma_f64 v[34:35], v[65:66], 2.0, -v[38:39]
	ds_write_b128 v41, v[0:3]
	ds_write_b128 v41, v[4:7] offset:160
	v_mad_u32_u24 v41, v78, s0, 0
	v_add3_u32 v41, v41, v79, v40
	ds_write_b128 v41, v[12:15]
	ds_write_b128 v41, v[8:11] offset:160
	v_mad_u32_u24 v41, v80, s0, 0
	v_add3_u32 v41, v41, v81, v40
	ds_write_b128 v41, v[20:23]
	ds_write_b128 v41, v[16:19] offset:160
	v_mad_u32_u24 v41, v82, s0, 0
	v_add3_u32 v41, v41, v83, v40
	ds_write_b128 v41, v[28:31]
	ds_write_b128 v41, v[24:27] offset:160
	v_mad_u32_u24 v41, v84, s0, 0
	v_add3_u32 v40, v41, v85, v40
	v_cmp_gt_u32_e64 s[0:1], 20, v48
	ds_write_b128 v40, v[32:35]
	ds_write_b128 v40, v[36:39] offset:160
	s_waitcnt lgkmcnt(0)
	s_barrier
	s_waitcnt lgkmcnt(0)
                                        ; implicit-def: $vgpr42_vgpr43
	s_and_saveexec_b64 s[4:5], s[0:1]
	s_cbranch_execz .LBB0_14
; %bb.13:
	ds_read_b128 v[0:3], v96
	ds_read_b128 v[4:7], v51 offset:320
	ds_read_b128 v[12:15], v51 offset:640
	;; [unrolled: 1-line block ×10, first 2 shown]
.LBB0_14:
	s_or_b64 exec, exec, s[4:5]
	s_waitcnt lgkmcnt(0)
	s_barrier
	s_and_saveexec_b64 s[4:5], s[0:1]
	s_cbranch_execz .LBB0_16
; %bb.15:
	v_subrev_u32_e32 v55, 20, v48
	v_cndmask_b32_e64 v55, v55, v48, s[0:1]
	v_mul_i32_i24_e32 v55, 10, v55
	v_mov_b32_e32 v56, 0
	v_lshlrev_b64 v[55:56], 4, v[55:56]
	v_mov_b32_e32 v57, s13
	v_add_co_u32_e64 v59, s[0:1], s12, v55
	v_addc_co_u32_e64 v60, s[0:1], v57, v56, s[0:1]
	global_load_dwordx4 v[55:58], v[59:60], off offset:224
	global_load_dwordx4 v[61:64], v[59:60], off offset:240
	global_load_dwordx4 v[65:68], v[59:60], off offset:208
	global_load_dwordx4 v[69:72], v[59:60], off offset:176
	global_load_dwordx4 v[73:76], v[59:60], off offset:160
	global_load_dwordx4 v[79:82], v[59:60], off offset:304
	global_load_dwordx4 v[83:86], v[59:60], off offset:288
	global_load_dwordx4 v[87:90], v[59:60], off offset:256
	global_load_dwordx4 v[101:104], v[59:60], off offset:192
	global_load_dwordx4 v[105:108], v[59:60], off offset:272
	s_mov_b32 s6, 0xfd768dbf
	s_mov_b32 s7, 0xbfd207e7
	;; [unrolled: 1-line block ×26, first 2 shown]
	s_waitcnt vmcnt(9)
	v_mul_f64 v[59:60], v[18:19], v[57:58]
	v_mul_f64 v[77:78], v[16:17], v[57:58]
	s_waitcnt vmcnt(8)
	v_mul_f64 v[91:92], v[30:31], v[63:64]
	v_mul_f64 v[63:64], v[28:29], v[63:64]
	s_waitcnt vmcnt(7)
	v_mul_f64 v[93:94], v[22:23], v[67:68]
	s_waitcnt vmcnt(6)
	v_mul_f64 v[109:110], v[14:15], v[71:72]
	v_mul_f64 v[71:72], v[12:13], v[71:72]
	s_waitcnt vmcnt(5)
	v_mul_f64 v[111:112], v[6:7], v[75:76]
	;; [unrolled: 3-line block ×4, first 2 shown]
	v_mul_f64 v[85:86], v[36:37], v[85:86]
	v_fma_f64 v[57:58], v[16:17], v[55:56], v[59:60]
	v_fma_f64 v[59:60], v[18:19], v[55:56], -v[77:78]
	v_fma_f64 v[28:29], v[28:29], v[61:62], v[91:92]
	v_fma_f64 v[55:56], v[30:31], v[61:62], -v[63:64]
	v_fma_f64 v[61:62], v[20:21], v[65:66], v[93:94]
	v_fma_f64 v[77:78], v[12:13], v[69:70], v[109:110]
	v_fma_f64 v[81:82], v[14:15], v[69:70], -v[71:72]
	v_fma_f64 v[91:92], v[4:5], v[73:74], v[111:112]
	v_fma_f64 v[93:94], v[6:7], v[73:74], -v[75:76]
	;; [unrolled: 2-line block ×3, first 2 shown]
	v_mul_f64 v[67:68], v[20:21], v[67:68]
	s_waitcnt vmcnt(2)
	v_mul_f64 v[119:120], v[26:27], v[89:90]
	v_mul_f64 v[89:90], v[24:25], v[89:90]
	s_waitcnt vmcnt(1)
	v_mul_f64 v[121:122], v[10:11], v[103:104]
	s_waitcnt vmcnt(0)
	v_mul_f64 v[123:124], v[34:35], v[107:108]
	v_mul_f64 v[103:104], v[8:9], v[103:104]
	;; [unrolled: 1-line block ×3, first 2 shown]
	v_fma_f64 v[16:17], v[36:37], v[83:84], v[117:118]
	v_fma_f64 v[18:19], v[38:39], v[83:84], -v[85:86]
	v_add_f64 v[109:110], v[91:92], -v[12:13]
	v_add_f64 v[115:116], v[93:94], -v[14:15]
	v_fma_f64 v[65:66], v[22:23], v[65:66], -v[67:68]
	v_fma_f64 v[36:37], v[26:27], v[87:88], -v[89:90]
	v_fma_f64 v[79:80], v[8:9], v[101:102], v[121:122]
	v_fma_f64 v[83:84], v[10:11], v[101:102], -v[103:104]
	v_fma_f64 v[20:21], v[32:33], v[105:106], v[123:124]
	v_fma_f64 v[22:23], v[34:35], v[105:106], -v[107:108]
	v_add_f64 v[89:90], v[77:78], -v[16:17]
	v_add_f64 v[113:114], v[93:94], v[14:15]
	v_add_f64 v[85:86], v[81:82], -v[18:19]
	v_add_f64 v[117:118], v[91:92], v[12:13]
	v_mul_f64 v[4:5], v[109:110], s[6:7]
	v_mul_f64 v[6:7], v[115:116], s[6:7]
	v_fma_f64 v[30:31], v[24:25], v[87:88], v[119:120]
	v_add_f64 v[75:76], v[81:82], v[18:19]
	v_add_f64 v[67:68], v[77:78], v[16:17]
	v_add_f64 v[87:88], v[79:80], -v[20:21]
	v_add_f64 v[73:74], v[83:84], -v[22:23]
	v_mul_f64 v[8:9], v[89:90], s[8:9]
	v_mul_f64 v[10:11], v[85:86], s[8:9]
	;; [unrolled: 1-line block ×3, first 2 shown]
	v_fma_f64 v[125:126], v[113:114], s[0:1], v[4:5]
	v_fma_f64 v[127:128], v[117:118], s[0:1], -v[6:7]
	v_fma_f64 v[4:5], v[113:114], s[0:1], -v[4:5]
	v_fma_f64 v[6:7], v[117:118], s[0:1], v[6:7]
	v_add_f64 v[69:70], v[83:84], v[22:23]
	v_add_f64 v[40:41], v[79:80], v[20:21]
	v_add_f64 v[71:72], v[61:62], -v[30:31]
	v_mul_f64 v[101:102], v[87:88], s[18:19]
	v_mul_f64 v[103:104], v[73:74], s[18:19]
	;; [unrolled: 1-line block ×3, first 2 shown]
	v_fma_f64 v[129:130], v[75:76], s[14:15], v[8:9]
	v_fma_f64 v[131:132], v[67:68], s[14:15], -v[10:11]
	v_fma_f64 v[133:134], v[113:114], s[16:17], v[107:108]
	v_fma_f64 v[8:9], v[75:76], s[14:15], -v[8:9]
	v_fma_f64 v[10:11], v[67:68], s[14:15], v[10:11]
	v_add_f64 v[125:126], v[2:3], v[125:126]
	v_add_f64 v[4:5], v[2:3], v[4:5]
	;; [unrolled: 1-line block ×4, first 2 shown]
	v_add_f64 v[42:43], v[65:66], -v[36:37]
	v_add_f64 v[32:33], v[57:58], -v[28:29]
	v_mul_f64 v[105:106], v[71:72], s[26:27]
	v_mul_f64 v[123:124], v[115:116], s[18:19]
	v_add_f64 v[127:128], v[0:1], v[127:128]
	v_fma_f64 v[135:136], v[75:76], s[22:23], v[111:112]
	v_fma_f64 v[137:138], v[69:70], s[16:17], v[101:102]
	v_add_f64 v[133:134], v[2:3], v[133:134]
	v_add_f64 v[125:126], v[129:130], v[125:126]
	;; [unrolled: 1-line block ×3, first 2 shown]
	v_fma_f64 v[8:9], v[40:41], s[16:17], v[103:104]
	v_add_f64 v[6:7], v[10:11], v[6:7]
	v_add_f64 v[38:39], v[61:62], v[30:31]
	;; [unrolled: 1-line block ×3, first 2 shown]
	v_add_f64 v[34:35], v[59:60], -v[55:56]
	v_mul_f64 v[119:120], v[42:43], s[26:27]
	v_mul_f64 v[121:122], v[32:33], s[24:25]
	v_fma_f64 v[139:140], v[40:41], s[16:17], -v[103:104]
	v_add_f64 v[127:128], v[131:132], v[127:128]
	v_fma_f64 v[101:102], v[69:70], s[16:17], -v[101:102]
	v_fma_f64 v[10:11], v[63:64], s[20:21], v[105:106]
	v_add_f64 v[103:104], v[135:136], v[133:134]
	v_add_f64 v[125:126], v[137:138], v[125:126]
	;; [unrolled: 1-line block ×3, first 2 shown]
	v_fma_f64 v[8:9], v[117:118], s[16:17], -v[123:124]
	v_mul_f64 v[133:134], v[85:86], s[28:29]
	v_add_f64 v[26:27], v[57:58], v[28:29]
	v_add_f64 v[127:128], v[139:140], v[127:128]
	v_fma_f64 v[129:130], v[38:39], s[20:21], -v[119:120]
	v_add_f64 v[4:5], v[101:102], v[4:5]
	v_mul_f64 v[101:102], v[34:35], s[24:25]
	v_mul_f64 v[131:132], v[87:88], s[30:31]
	v_fma_f64 v[105:106], v[63:64], s[20:21], -v[105:106]
	v_add_f64 v[10:11], v[10:11], v[125:126]
	v_fma_f64 v[125:126], v[24:25], s[22:23], v[121:122]
	v_fma_f64 v[119:120], v[38:39], s[20:21], v[119:120]
	v_add_f64 v[8:9], v[0:1], v[8:9]
	v_fma_f64 v[135:136], v[67:68], s[22:23], -v[133:134]
	v_mul_f64 v[137:138], v[73:74], s[30:31]
	v_add_f64 v[127:128], v[129:130], v[127:128]
	v_fma_f64 v[129:130], v[26:27], s[22:23], -v[101:102]
	v_fma_f64 v[121:122], v[24:25], s[22:23], -v[121:122]
	v_fma_f64 v[101:102], v[26:27], s[22:23], v[101:102]
	v_add_f64 v[105:106], v[105:106], v[4:5]
	v_fma_f64 v[139:140], v[69:70], s[14:15], v[131:132]
	v_add_f64 v[119:120], v[119:120], v[6:7]
	v_mul_f64 v[141:142], v[71:72], s[6:7]
	v_add_f64 v[8:9], v[135:136], v[8:9]
	v_fma_f64 v[135:136], v[40:41], s[14:15], -v[137:138]
	v_mul_f64 v[143:144], v[42:43], s[6:7]
	v_add_f64 v[6:7], v[125:126], v[10:11]
	v_fma_f64 v[10:11], v[113:114], s[16:17], -v[107:108]
	v_fma_f64 v[123:124], v[117:118], s[16:17], v[123:124]
	v_add_f64 v[4:5], v[129:130], v[127:128]
	v_add_f64 v[103:104], v[139:140], v[103:104]
	v_fma_f64 v[107:108], v[63:64], s[0:1], v[141:142]
	v_add_f64 v[125:126], v[135:136], v[8:9]
	v_fma_f64 v[127:128], v[38:39], s[0:1], -v[143:144]
	v_add_f64 v[8:9], v[101:102], v[119:120]
	v_add_f64 v[129:130], v[2:3], v[10:11]
	;; [unrolled: 1-line block ×3, first 2 shown]
	v_fma_f64 v[101:102], v[67:68], s[22:23], v[133:134]
	v_add_f64 v[105:106], v[0:1], v[123:124]
	v_mul_f64 v[119:120], v[109:110], s[24:25]
	v_fma_f64 v[111:112], v[75:76], s[22:23], -v[111:112]
	v_add_f64 v[103:104], v[107:108], v[103:104]
	v_add_f64 v[107:108], v[127:128], v[125:126]
	v_mul_f64 v[123:124], v[115:116], s[24:25]
	v_mul_f64 v[127:128], v[89:90], s[34:35]
	;; [unrolled: 1-line block ×3, first 2 shown]
	v_add_f64 v[101:102], v[101:102], v[105:106]
	v_fma_f64 v[105:106], v[113:114], s[22:23], v[119:120]
	v_add_f64 v[111:112], v[111:112], v[129:130]
	v_fma_f64 v[125:126], v[69:70], s[14:15], -v[131:132]
	v_fma_f64 v[129:130], v[40:41], s[14:15], v[137:138]
	v_fma_f64 v[131:132], v[117:118], s[22:23], -v[123:124]
	v_mul_f64 v[133:134], v[85:86], s[34:35]
	v_fma_f64 v[137:138], v[75:76], s[0:1], v[127:128]
	v_mul_f64 v[139:140], v[87:88], s[26:27]
	v_add_f64 v[105:106], v[2:3], v[105:106]
	v_mul_f64 v[147:148], v[73:74], s[26:27]
	v_add_f64 v[111:112], v[125:126], v[111:112]
	v_fma_f64 v[125:126], v[24:25], s[20:21], v[121:122]
	v_add_f64 v[131:132], v[0:1], v[131:132]
	v_fma_f64 v[145:146], v[67:68], s[0:1], -v[133:134]
	v_mul_f64 v[149:150], v[71:72], s[30:31]
	v_mul_f64 v[135:136], v[34:35], s[26:27]
	v_add_f64 v[105:106], v[137:138], v[105:106]
	v_fma_f64 v[137:138], v[69:70], s[20:21], v[139:140]
	v_add_f64 v[101:102], v[129:130], v[101:102]
	v_fma_f64 v[141:142], v[63:64], s[0:1], -v[141:142]
	v_mul_f64 v[151:152], v[42:43], s[30:31]
	v_add_f64 v[131:132], v[145:146], v[131:132]
	v_fma_f64 v[145:146], v[40:41], s[20:21], -v[147:148]
	v_fma_f64 v[143:144], v[38:39], s[0:1], v[143:144]
	v_add_f64 v[103:104], v[125:126], v[103:104]
	v_add_f64 v[105:106], v[137:138], v[105:106]
	v_fma_f64 v[125:126], v[63:64], s[14:15], v[149:150]
	v_mul_f64 v[137:138], v[32:33], s[18:19]
	v_fma_f64 v[129:130], v[26:27], s[20:21], -v[135:136]
	v_add_f64 v[111:112], v[141:142], v[111:112]
	v_add_f64 v[131:132], v[145:146], v[131:132]
	v_fma_f64 v[141:142], v[38:39], s[14:15], -v[151:152]
	v_mul_f64 v[145:146], v[34:35], s[18:19]
	v_fma_f64 v[121:122], v[24:25], s[20:21], -v[121:122]
	v_add_f64 v[143:144], v[143:144], v[101:102]
	v_fma_f64 v[135:136], v[26:27], s[20:21], v[135:136]
	v_add_f64 v[125:126], v[125:126], v[105:106]
	v_fma_f64 v[153:154], v[24:25], s[16:17], v[137:138]
	s_mov_b32 s27, 0xbfed1bb4
	v_add_f64 v[101:102], v[129:130], v[107:108]
	v_add_f64 v[129:130], v[141:142], v[131:132]
	v_fma_f64 v[131:132], v[26:27], s[16:17], -v[145:146]
	v_add_f64 v[107:108], v[121:122], v[111:112]
	v_mul_f64 v[121:122], v[109:110], s[26:27]
	v_add_f64 v[105:106], v[135:136], v[143:144]
	v_add_f64 v[111:112], v[153:154], v[125:126]
	v_mul_f64 v[125:126], v[109:110], s[30:31]
	v_mul_f64 v[135:136], v[115:116], s[26:27]
	;; [unrolled: 1-line block ×3, first 2 shown]
	v_add_f64 v[109:110], v[131:132], v[129:130]
	v_fma_f64 v[119:120], v[113:114], s[22:23], -v[119:120]
	v_fma_f64 v[129:130], v[113:114], s[20:21], v[121:122]
	v_fma_f64 v[121:122], v[113:114], s[20:21], -v[121:122]
	v_fma_f64 v[123:124], v[117:118], s[22:23], v[123:124]
	v_fma_f64 v[131:132], v[113:114], s[14:15], v[125:126]
	v_fma_f64 v[141:142], v[117:118], s[20:21], -v[135:136]
	v_fma_f64 v[113:114], v[113:114], s[14:15], -v[125:126]
	v_fma_f64 v[125:126], v[117:118], s[20:21], v[135:136]
	v_fma_f64 v[135:136], v[117:118], s[14:15], -v[115:116]
	v_fma_f64 v[115:116], v[117:118], s[14:15], v[115:116]
	v_add_f64 v[117:118], v[2:3], v[119:120]
	v_add_f64 v[119:120], v[0:1], v[123:124]
	;; [unrolled: 1-line block ×12, first 2 shown]
	v_fma_f64 v[127:128], v[75:76], s[0:1], -v[127:128]
	v_fma_f64 v[133:134], v[67:68], s[0:1], v[133:134]
	v_mul_f64 v[93:94], v[85:86], s[18:19]
	v_mul_f64 v[141:142], v[89:90], s[18:19]
	;; [unrolled: 1-line block ×4, first 2 shown]
	v_add_f64 v[2:3], v[2:3], v[81:82]
	v_add_f64 v[0:1], v[0:1], v[77:78]
	;; [unrolled: 1-line block ×3, first 2 shown]
	v_fma_f64 v[127:128], v[69:70], s[20:21], -v[139:140]
	v_add_f64 v[119:120], v[133:134], v[119:120]
	v_fma_f64 v[133:134], v[40:41], s[20:21], v[147:148]
	v_fma_f64 v[147:148], v[67:68], s[16:17], -v[93:94]
	v_fma_f64 v[93:94], v[67:68], s[16:17], v[93:94]
	v_add_f64 v[2:3], v[2:3], v[83:84]
	v_add_f64 v[0:1], v[0:1], v[79:80]
	v_fma_f64 v[91:92], v[75:76], s[16:17], -v[141:142]
	v_add_f64 v[117:118], v[127:128], v[117:118]
	v_fma_f64 v[127:128], v[63:64], s[14:15], -v[149:150]
	v_mul_f64 v[149:150], v[73:74], s[34:35]
	v_mul_f64 v[79:80], v[85:86], s[26:27]
	v_add_f64 v[93:94], v[93:94], v[125:126]
	v_add_f64 v[2:3], v[2:3], v[65:66]
	;; [unrolled: 1-line block ×3, first 2 shown]
	v_mul_f64 v[83:84], v[87:88], s[24:25]
	v_fma_f64 v[65:66], v[75:76], s[20:21], -v[89:90]
	v_fma_f64 v[143:144], v[75:76], s[16:17], v[141:142]
	v_fma_f64 v[125:126], v[40:41], s[0:1], v[149:150]
	v_fma_f64 v[139:140], v[69:70], s[0:1], v[153:154]
	v_add_f64 v[119:120], v[133:134], v[119:120]
	v_add_f64 v[2:3], v[2:3], v[59:60]
	;; [unrolled: 1-line block ×3, first 2 shown]
	v_fma_f64 v[133:134], v[38:39], s[14:15], v[151:152]
	v_add_f64 v[91:92], v[91:92], v[121:122]
	v_fma_f64 v[121:122], v[69:70], s[0:1], -v[153:154]
	v_add_f64 v[93:94], v[125:126], v[93:94]
	v_fma_f64 v[125:126], v[75:76], s[20:21], v[89:90]
	v_fma_f64 v[61:62], v[67:68], s[20:21], -v[79:80]
	v_add_f64 v[2:3], v[2:3], v[55:56]
	v_add_f64 v[0:1], v[0:1], v[28:29]
	v_mul_f64 v[73:74], v[73:74], s[24:25]
	v_fma_f64 v[75:76], v[69:70], s[22:23], v[83:84]
	v_fma_f64 v[69:70], v[69:70], s[22:23], -v[83:84]
	v_add_f64 v[59:60], v[65:66], v[113:114]
	v_fma_f64 v[67:68], v[67:68], s[20:21], v[79:80]
	v_add_f64 v[123:124], v[143:144], v[123:124]
	v_mul_f64 v[143:144], v[71:72], s[28:29]
	v_add_f64 v[87:88], v[125:126], v[131:132]
	v_mul_f64 v[71:72], v[71:72], s[18:19]
	v_add_f64 v[2:3], v[2:3], v[36:37]
	v_add_f64 v[0:1], v[0:1], v[30:31]
	;; [unrolled: 1-line block ×4, first 2 shown]
	v_fma_f64 v[129:130], v[40:41], s[0:1], -v[149:150]
	v_add_f64 v[119:120], v[133:134], v[119:120]
	v_mul_f64 v[133:134], v[42:43], s[28:29]
	v_add_f64 v[57:58], v[61:62], v[135:136]
	v_fma_f64 v[61:62], v[40:41], s[22:23], -v[73:74]
	v_add_f64 v[55:56], v[69:70], v[59:60]
	v_mul_f64 v[42:43], v[42:43], s[18:19]
	v_fma_f64 v[40:41], v[40:41], s[22:23], v[73:74]
	v_add_f64 v[59:60], v[67:68], v[115:116]
	v_add_f64 v[65:66], v[75:76], v[87:88]
	v_fma_f64 v[75:76], v[63:64], s[16:17], -v[71:72]
	v_mul_f64 v[30:31], v[32:33], s[8:9]
	v_add_f64 v[22:23], v[2:3], v[22:23]
	v_add_f64 v[0:1], v[0:1], v[20:21]
	v_mul_f64 v[32:33], v[32:33], s[6:7]
	v_fma_f64 v[81:82], v[38:39], s[22:23], -v[133:134]
	v_add_f64 v[77:78], v[121:122], v[91:92]
	v_fma_f64 v[121:122], v[38:39], s[22:23], v[133:134]
	v_add_f64 v[57:58], v[61:62], v[57:58]
	v_fma_f64 v[61:62], v[38:39], s[16:17], -v[42:43]
	v_fma_f64 v[38:39], v[38:39], s[16:17], v[42:43]
	v_add_f64 v[40:41], v[40:41], v[59:60]
	v_mul_f64 v[42:43], v[34:35], s[8:9]
	v_mul_f64 v[34:35], v[34:35], s[6:7]
	v_fma_f64 v[91:92], v[63:64], s[22:23], -v[143:144]
	v_add_f64 v[36:37], v[75:76], v[55:56]
	v_fma_f64 v[55:56], v[24:25], s[16:17], -v[137:138]
	v_add_f64 v[123:124], v[139:140], v[123:124]
	v_fma_f64 v[139:140], v[63:64], s[22:23], v[143:144]
	v_add_f64 v[127:128], v[129:130], v[127:128]
	v_fma_f64 v[28:29], v[63:64], s[16:17], v[71:72]
	v_add_f64 v[18:19], v[22:23], v[18:19]
	v_fma_f64 v[22:23], v[24:25], s[0:1], -v[32:33]
	v_add_f64 v[0:1], v[0:1], v[16:17]
	v_add_f64 v[38:39], v[38:39], v[40:41]
	v_fma_f64 v[59:60], v[26:27], s[0:1], v[34:35]
	v_add_f64 v[77:78], v[91:92], v[77:78]
	v_add_f64 v[85:86], v[121:122], v[93:94]
	v_fma_f64 v[20:21], v[24:25], s[14:15], -v[30:31]
	v_fma_f64 v[40:41], v[26:27], s[14:15], -v[42:43]
	v_fma_f64 v[42:43], v[26:27], s[14:15], v[42:43]
	v_add_f64 v[2:3], v[55:56], v[117:118]
	v_fma_f64 v[55:56], v[26:27], s[16:17], v[145:146]
	v_add_f64 v[123:124], v[139:140], v[123:124]
	v_add_f64 v[81:82], v[81:82], v[127:128]
	v_fma_f64 v[30:31], v[24:25], s[14:15], v[30:31]
	v_fma_f64 v[32:33], v[24:25], s[0:1], v[32:33]
	v_add_f64 v[63:64], v[28:29], v[65:66]
	v_fma_f64 v[34:35], v[26:27], s[0:1], -v[34:35]
	v_add_f64 v[57:58], v[61:62], v[57:58]
	v_add_f64 v[16:17], v[22:23], v[36:37]
	;; [unrolled: 1-line block ×12, first 2 shown]
	ds_write_b128 v96, v[22:25]
	ds_write_b128 v51, v[14:17] offset:320
	ds_write_b128 v51, v[18:21] offset:640
	ds_write_b128 v51, v[0:3] offset:960
	ds_write_b128 v51, v[105:108] offset:1280
	ds_write_b128 v51, v[8:11] offset:1600
	ds_write_b128 v51, v[4:7] offset:1920
	ds_write_b128 v51, v[101:104] offset:2240
	ds_write_b128 v51, v[109:112] offset:2560
	ds_write_b128 v51, v[26:29] offset:2880
	ds_write_b128 v51, v[30:33] offset:3200
.LBB0_16:
	s_or_b64 exec, exec, s[4:5]
	s_waitcnt lgkmcnt(0)
	s_barrier
	ds_read_b128 v[4:7], v96
	v_sub_u32_e32 v12, v95, v49
	v_cmp_ne_u32_e64 s[0:1], 0, v48
                                        ; implicit-def: $vgpr0_vgpr1
                                        ; implicit-def: $vgpr8_vgpr9
                                        ; implicit-def: $vgpr10_vgpr11
	s_and_saveexec_b64 s[4:5], s[0:1]
	s_xor_b64 s[4:5], exec, s[4:5]
	s_cbranch_execz .LBB0_18
; %bb.17:
	v_mov_b32_e32 v49, 0
	v_lshlrev_b64 v[0:1], 4, v[48:49]
	v_mov_b32_e32 v2, s13
	v_add_co_u32_e64 v0, s[0:1], s12, v0
	v_addc_co_u32_e64 v1, s[0:1], v2, v1, s[0:1]
	global_load_dwordx4 v[13:16], v[0:1], off offset:3360
	ds_read_b128 v[0:3], v12 offset:3520
	s_waitcnt lgkmcnt(0)
	v_add_f64 v[8:9], v[4:5], -v[0:1]
	v_add_f64 v[10:11], v[6:7], v[2:3]
	v_add_f64 v[2:3], v[6:7], -v[2:3]
	v_add_f64 v[0:1], v[4:5], v[0:1]
	v_mul_f64 v[6:7], v[8:9], 0.5
	v_mul_f64 v[4:5], v[10:11], 0.5
	;; [unrolled: 1-line block ×3, first 2 shown]
	s_waitcnt vmcnt(0)
	v_mul_f64 v[8:9], v[6:7], v[15:16]
	v_fma_f64 v[10:11], v[4:5], v[15:16], v[2:3]
	v_fma_f64 v[2:3], v[4:5], v[15:16], -v[2:3]
	v_fma_f64 v[17:18], v[0:1], 0.5, v[8:9]
	v_fma_f64 v[0:1], v[0:1], 0.5, -v[8:9]
	v_fma_f64 v[10:11], -v[13:14], v[6:7], v[10:11]
	v_fma_f64 v[2:3], -v[13:14], v[6:7], v[2:3]
	v_fma_f64 v[8:9], v[4:5], v[13:14], v[17:18]
	v_fma_f64 v[0:1], -v[4:5], v[13:14], v[0:1]
                                        ; implicit-def: $vgpr4_vgpr5
.LBB0_18:
	s_andn2_saveexec_b64 s[0:1], s[4:5]
	s_cbranch_execz .LBB0_20
; %bb.19:
	s_waitcnt lgkmcnt(0)
	v_add_f64 v[8:9], v[4:5], v[6:7]
	ds_read_b64 v[2:3], v95 offset:1768
	v_add_f64 v[0:1], v[4:5], -v[6:7]
	v_mov_b32_e32 v10, 0
	v_mov_b32_e32 v11, 0
	s_waitcnt lgkmcnt(0)
	v_xor_b32_e32 v3, 0x80000000, v3
	ds_write_b64 v95, v[2:3] offset:1768
	v_mov_b32_e32 v2, v10
	v_mov_b32_e32 v3, v11
.LBB0_20:
	s_or_b64 exec, exec, s[0:1]
	v_mov_b32_e32 v51, 0
	s_waitcnt lgkmcnt(0)
	v_lshlrev_b64 v[4:5], 4, v[50:51]
	v_mov_b32_e32 v25, s13
	v_add_co_u32_e64 v4, s[0:1], s12, v4
	v_addc_co_u32_e64 v5, s[0:1], v25, v5, s[0:1]
	global_load_dwordx4 v[4:7], v[4:5], off offset:3360
	v_mov_b32_e32 v55, v51
	v_lshlrev_b64 v[13:14], 4, v[54:55]
	v_mov_b32_e32 v54, v51
	v_add_co_u32_e64 v13, s[0:1], s12, v13
	v_addc_co_u32_e64 v14, s[0:1], v25, v14, s[0:1]
	global_load_dwordx4 v[13:16], v[13:14], off offset:3360
	ds_write2_b64 v96, v[8:9], v[10:11] offset1:1
	ds_write_b128 v12, v[0:3] offset:3520
	ds_read_b128 v[0:3], v100
	ds_read_b128 v[8:11], v12 offset:3168
	s_waitcnt lgkmcnt(0)
	v_add_f64 v[17:18], v[0:1], -v[8:9]
	v_add_f64 v[19:20], v[2:3], v[10:11]
	v_add_f64 v[2:3], v[2:3], -v[10:11]
	v_add_f64 v[0:1], v[0:1], v[8:9]
	v_mul_f64 v[10:11], v[17:18], 0.5
	v_mul_f64 v[17:18], v[19:20], 0.5
	v_mul_f64 v[2:3], v[2:3], 0.5
	v_lshlrev_b64 v[19:20], 4, v[53:54]
	v_mov_b32_e32 v53, v51
	s_waitcnt vmcnt(1)
	v_mul_f64 v[8:9], v[10:11], v[6:7]
	v_fma_f64 v[21:22], v[17:18], v[6:7], v[2:3]
	v_fma_f64 v[6:7], v[17:18], v[6:7], -v[2:3]
	v_fma_f64 v[23:24], v[0:1], 0.5, v[8:9]
	v_fma_f64 v[8:9], v[0:1], 0.5, -v[8:9]
	v_add_co_u32_e64 v0, s[0:1], s12, v19
	v_addc_co_u32_e64 v1, s[0:1], v25, v20, s[0:1]
	global_load_dwordx4 v[0:3], v[0:1], off offset:3360
	v_fma_f64 v[19:20], -v[4:5], v[10:11], v[21:22]
	v_fma_f64 v[6:7], -v[4:5], v[10:11], v[6:7]
	v_fma_f64 v[10:11], v[17:18], v[4:5], v[23:24]
	v_fma_f64 v[4:5], -v[17:18], v[4:5], v[8:9]
	ds_write2_b64 v100, v[10:11], v[19:20] offset1:1
	ds_write_b128 v12, v[4:7] offset:3168
	ds_read_b128 v[4:7], v99
	ds_read_b128 v[8:11], v12 offset:2816
	s_waitcnt lgkmcnt(0)
	v_add_f64 v[17:18], v[4:5], -v[8:9]
	v_add_f64 v[19:20], v[6:7], v[10:11]
	v_add_f64 v[6:7], v[6:7], -v[10:11]
	v_add_f64 v[4:5], v[4:5], v[8:9]
	v_mul_f64 v[10:11], v[17:18], 0.5
	v_mul_f64 v[17:18], v[19:20], 0.5
	;; [unrolled: 1-line block ×3, first 2 shown]
	v_lshlrev_b64 v[19:20], 4, v[52:53]
	s_waitcnt vmcnt(1)
	v_mul_f64 v[8:9], v[10:11], v[15:16]
	v_fma_f64 v[21:22], v[17:18], v[15:16], v[6:7]
	v_fma_f64 v[15:16], v[17:18], v[15:16], -v[6:7]
	v_fma_f64 v[23:24], v[4:5], 0.5, v[8:9]
	v_fma_f64 v[8:9], v[4:5], 0.5, -v[8:9]
	v_add_co_u32_e64 v4, s[0:1], s12, v19
	v_addc_co_u32_e64 v5, s[0:1], v25, v20, s[0:1]
	global_load_dwordx4 v[4:7], v[4:5], off offset:3360
	v_fma_f64 v[19:20], -v[13:14], v[10:11], v[21:22]
	v_fma_f64 v[10:11], -v[13:14], v[10:11], v[15:16]
	v_fma_f64 v[15:16], v[17:18], v[13:14], v[23:24]
	v_fma_f64 v[8:9], -v[17:18], v[13:14], v[8:9]
	ds_write2_b64 v99, v[15:16], v[19:20] offset1:1
	ds_write_b128 v12, v[8:11] offset:2816
	ds_read_b128 v[8:11], v98
	ds_read_b128 v[13:16], v12 offset:2464
	s_waitcnt lgkmcnt(0)
	v_add_f64 v[17:18], v[8:9], -v[13:14]
	v_add_f64 v[19:20], v[10:11], v[15:16]
	v_add_f64 v[10:11], v[10:11], -v[15:16]
	v_add_f64 v[8:9], v[8:9], v[13:14]
	v_mul_f64 v[15:16], v[17:18], 0.5
	v_mul_f64 v[17:18], v[19:20], 0.5
	;; [unrolled: 1-line block ×3, first 2 shown]
	s_waitcnt vmcnt(1)
	v_mul_f64 v[13:14], v[15:16], v[2:3]
	v_fma_f64 v[19:20], v[17:18], v[2:3], v[10:11]
	v_fma_f64 v[2:3], v[17:18], v[2:3], -v[10:11]
	v_fma_f64 v[10:11], v[8:9], 0.5, v[13:14]
	v_fma_f64 v[8:9], v[8:9], 0.5, -v[13:14]
	v_fma_f64 v[13:14], -v[0:1], v[15:16], v[19:20]
	v_fma_f64 v[2:3], -v[0:1], v[15:16], v[2:3]
	v_fma_f64 v[10:11], v[17:18], v[0:1], v[10:11]
	v_fma_f64 v[0:1], -v[17:18], v[0:1], v[8:9]
	ds_write2_b64 v98, v[10:11], v[13:14] offset1:1
	ds_write_b128 v12, v[0:3] offset:2464
	ds_read_b128 v[0:3], v97
	ds_read_b128 v[8:11], v12 offset:2112
	s_waitcnt lgkmcnt(0)
	v_add_f64 v[13:14], v[0:1], -v[8:9]
	v_add_f64 v[15:16], v[2:3], v[10:11]
	v_add_f64 v[2:3], v[2:3], -v[10:11]
	v_add_f64 v[0:1], v[0:1], v[8:9]
	v_mul_f64 v[10:11], v[13:14], 0.5
	v_mul_f64 v[13:14], v[15:16], 0.5
	;; [unrolled: 1-line block ×3, first 2 shown]
	s_waitcnt vmcnt(0)
	v_mul_f64 v[8:9], v[10:11], v[6:7]
	v_fma_f64 v[15:16], v[13:14], v[6:7], v[2:3]
	v_fma_f64 v[2:3], v[13:14], v[6:7], -v[2:3]
	v_fma_f64 v[6:7], v[0:1], 0.5, v[8:9]
	v_fma_f64 v[0:1], v[0:1], 0.5, -v[8:9]
	v_fma_f64 v[8:9], -v[4:5], v[10:11], v[15:16]
	v_fma_f64 v[2:3], -v[4:5], v[10:11], v[2:3]
	v_fma_f64 v[6:7], v[13:14], v[4:5], v[6:7]
	v_fma_f64 v[0:1], -v[13:14], v[4:5], v[0:1]
	ds_write2_b64 v97, v[6:7], v[8:9] offset1:1
	ds_write_b128 v12, v[0:3] offset:2112
	s_waitcnt lgkmcnt(0)
	s_barrier
	s_and_saveexec_b64 s[0:1], vcc
	s_cbranch_execz .LBB0_23
; %bb.21:
	v_mul_lo_u32 v2, s3, v46
	v_mul_lo_u32 v3, s2, v47
	v_mad_u64_u32 v[0:1], s[0:1], s2, v46, 0
	v_mov_b32_e32 v7, s11
	v_mov_b32_e32 v49, v51
	v_add3_u32 v1, v1, v3, v2
	v_lshlrev_b64 v[0:1], 4, v[0:1]
	v_lshl_add_u32 v2, v48, 4, v95
	v_add_co_u32_e32 v8, vcc, s10, v0
	v_addc_co_u32_e32 v7, vcc, v7, v1, vcc
	v_lshlrev_b64 v[0:1], 4, v[44:45]
	ds_read_b128 v[3:6], v2
	v_add_co_u32_e32 v0, vcc, v8, v0
	v_addc_co_u32_e32 v1, vcc, v7, v1, vcc
	v_lshlrev_b64 v[7:8], 4, v[48:49]
	v_add_u32_e32 v50, 22, v48
	v_add_co_u32_e32 v11, vcc, v0, v7
	v_addc_co_u32_e32 v12, vcc, v1, v8, vcc
	ds_read_b128 v[7:10], v2 offset:352
	s_waitcnt lgkmcnt(1)
	global_store_dwordx4 v[11:12], v[3:6], off
	s_nop 0
	v_lshlrev_b64 v[3:4], 4, v[50:51]
	v_add_u32_e32 v50, 44, v48
	v_add_co_u32_e32 v3, vcc, v0, v3
	v_addc_co_u32_e32 v4, vcc, v1, v4, vcc
	s_waitcnt lgkmcnt(0)
	global_store_dwordx4 v[3:4], v[7:10], off
	ds_read_b128 v[3:6], v2 offset:704
	v_lshlrev_b64 v[7:8], 4, v[50:51]
	v_add_u32_e32 v50, 0x42, v48
	v_add_co_u32_e32 v11, vcc, v0, v7
	v_addc_co_u32_e32 v12, vcc, v1, v8, vcc
	ds_read_b128 v[7:10], v2 offset:1056
	s_waitcnt lgkmcnt(1)
	global_store_dwordx4 v[11:12], v[3:6], off
	s_nop 0
	v_lshlrev_b64 v[3:4], 4, v[50:51]
	v_add_u32_e32 v50, 0x58, v48
	v_add_co_u32_e32 v3, vcc, v0, v3
	v_addc_co_u32_e32 v4, vcc, v1, v4, vcc
	s_waitcnt lgkmcnt(0)
	global_store_dwordx4 v[3:4], v[7:10], off
	ds_read_b128 v[3:6], v2 offset:1408
	;; [unrolled: 15-line block ×4, first 2 shown]
	v_lshlrev_b64 v[7:8], 4, v[50:51]
	v_add_u32_e32 v50, 0xc6, v48
	v_add_co_u32_e32 v11, vcc, v0, v7
	v_addc_co_u32_e32 v12, vcc, v1, v8, vcc
	ds_read_b128 v[7:10], v2 offset:3168
	s_waitcnt lgkmcnt(1)
	global_store_dwordx4 v[11:12], v[3:6], off
	s_nop 0
	v_lshlrev_b64 v[3:4], 4, v[50:51]
	v_add_co_u32_e32 v3, vcc, v0, v3
	v_addc_co_u32_e32 v4, vcc, v1, v4, vcc
	v_cmp_eq_u32_e32 vcc, 21, v48
	s_waitcnt lgkmcnt(0)
	global_store_dwordx4 v[3:4], v[7:10], off
	s_and_b64 exec, exec, vcc
	s_cbranch_execz .LBB0_23
; %bb.22:
	ds_read_b128 v[2:5], v2 offset:3184
	s_waitcnt lgkmcnt(0)
	global_store_dwordx4 v[0:1], v[2:5], off offset:3520
.LBB0_23:
	s_endpgm
	.section	.rodata,"a",@progbits
	.p2align	6, 0x0
	.amdhsa_kernel fft_rtc_back_len220_factors_10_2_11_wgs_110_tpt_22_dp_op_CI_CI_unitstride_sbrr_R2C_dirReg
		.amdhsa_group_segment_fixed_size 0
		.amdhsa_private_segment_fixed_size 0
		.amdhsa_kernarg_size 104
		.amdhsa_user_sgpr_count 6
		.amdhsa_user_sgpr_private_segment_buffer 1
		.amdhsa_user_sgpr_dispatch_ptr 0
		.amdhsa_user_sgpr_queue_ptr 0
		.amdhsa_user_sgpr_kernarg_segment_ptr 1
		.amdhsa_user_sgpr_dispatch_id 0
		.amdhsa_user_sgpr_flat_scratch_init 0
		.amdhsa_user_sgpr_private_segment_size 0
		.amdhsa_uses_dynamic_stack 0
		.amdhsa_system_sgpr_private_segment_wavefront_offset 0
		.amdhsa_system_sgpr_workgroup_id_x 1
		.amdhsa_system_sgpr_workgroup_id_y 0
		.amdhsa_system_sgpr_workgroup_id_z 0
		.amdhsa_system_sgpr_workgroup_info 0
		.amdhsa_system_vgpr_workitem_id 0
		.amdhsa_next_free_vgpr 155
		.amdhsa_next_free_sgpr 36
		.amdhsa_reserve_vcc 1
		.amdhsa_reserve_flat_scratch 0
		.amdhsa_float_round_mode_32 0
		.amdhsa_float_round_mode_16_64 0
		.amdhsa_float_denorm_mode_32 3
		.amdhsa_float_denorm_mode_16_64 3
		.amdhsa_dx10_clamp 1
		.amdhsa_ieee_mode 1
		.amdhsa_fp16_overflow 0
		.amdhsa_exception_fp_ieee_invalid_op 0
		.amdhsa_exception_fp_denorm_src 0
		.amdhsa_exception_fp_ieee_div_zero 0
		.amdhsa_exception_fp_ieee_overflow 0
		.amdhsa_exception_fp_ieee_underflow 0
		.amdhsa_exception_fp_ieee_inexact 0
		.amdhsa_exception_int_div_zero 0
	.end_amdhsa_kernel
	.text
.Lfunc_end0:
	.size	fft_rtc_back_len220_factors_10_2_11_wgs_110_tpt_22_dp_op_CI_CI_unitstride_sbrr_R2C_dirReg, .Lfunc_end0-fft_rtc_back_len220_factors_10_2_11_wgs_110_tpt_22_dp_op_CI_CI_unitstride_sbrr_R2C_dirReg
                                        ; -- End function
	.section	.AMDGPU.csdata,"",@progbits
; Kernel info:
; codeLenInByte = 8908
; NumSgprs: 40
; NumVgprs: 155
; ScratchSize: 0
; MemoryBound: 0
; FloatMode: 240
; IeeeMode: 1
; LDSByteSize: 0 bytes/workgroup (compile time only)
; SGPRBlocks: 4
; VGPRBlocks: 38
; NumSGPRsForWavesPerEU: 40
; NumVGPRsForWavesPerEU: 155
; Occupancy: 1
; WaveLimiterHint : 1
; COMPUTE_PGM_RSRC2:SCRATCH_EN: 0
; COMPUTE_PGM_RSRC2:USER_SGPR: 6
; COMPUTE_PGM_RSRC2:TRAP_HANDLER: 0
; COMPUTE_PGM_RSRC2:TGID_X_EN: 1
; COMPUTE_PGM_RSRC2:TGID_Y_EN: 0
; COMPUTE_PGM_RSRC2:TGID_Z_EN: 0
; COMPUTE_PGM_RSRC2:TIDIG_COMP_CNT: 0
	.type	__hip_cuid_c7632553a3771259,@object ; @__hip_cuid_c7632553a3771259
	.section	.bss,"aw",@nobits
	.globl	__hip_cuid_c7632553a3771259
__hip_cuid_c7632553a3771259:
	.byte	0                               ; 0x0
	.size	__hip_cuid_c7632553a3771259, 1

	.ident	"AMD clang version 19.0.0git (https://github.com/RadeonOpenCompute/llvm-project roc-6.4.0 25133 c7fe45cf4b819c5991fe208aaa96edf142730f1d)"
	.section	".note.GNU-stack","",@progbits
	.addrsig
	.addrsig_sym __hip_cuid_c7632553a3771259
	.amdgpu_metadata
---
amdhsa.kernels:
  - .args:
      - .actual_access:  read_only
        .address_space:  global
        .offset:         0
        .size:           8
        .value_kind:     global_buffer
      - .offset:         8
        .size:           8
        .value_kind:     by_value
      - .actual_access:  read_only
        .address_space:  global
        .offset:         16
        .size:           8
        .value_kind:     global_buffer
      - .actual_access:  read_only
        .address_space:  global
        .offset:         24
        .size:           8
        .value_kind:     global_buffer
      - .actual_access:  read_only
        .address_space:  global
        .offset:         32
        .size:           8
        .value_kind:     global_buffer
      - .offset:         40
        .size:           8
        .value_kind:     by_value
      - .actual_access:  read_only
        .address_space:  global
        .offset:         48
        .size:           8
        .value_kind:     global_buffer
      - .actual_access:  read_only
        .address_space:  global
        .offset:         56
        .size:           8
        .value_kind:     global_buffer
      - .offset:         64
        .size:           4
        .value_kind:     by_value
      - .actual_access:  read_only
        .address_space:  global
        .offset:         72
        .size:           8
        .value_kind:     global_buffer
      - .actual_access:  read_only
        .address_space:  global
        .offset:         80
        .size:           8
        .value_kind:     global_buffer
      - .actual_access:  read_only
        .address_space:  global
        .offset:         88
        .size:           8
        .value_kind:     global_buffer
      - .actual_access:  write_only
        .address_space:  global
        .offset:         96
        .size:           8
        .value_kind:     global_buffer
    .group_segment_fixed_size: 0
    .kernarg_segment_align: 8
    .kernarg_segment_size: 104
    .language:       OpenCL C
    .language_version:
      - 2
      - 0
    .max_flat_workgroup_size: 110
    .name:           fft_rtc_back_len220_factors_10_2_11_wgs_110_tpt_22_dp_op_CI_CI_unitstride_sbrr_R2C_dirReg
    .private_segment_fixed_size: 0
    .sgpr_count:     40
    .sgpr_spill_count: 0
    .symbol:         fft_rtc_back_len220_factors_10_2_11_wgs_110_tpt_22_dp_op_CI_CI_unitstride_sbrr_R2C_dirReg.kd
    .uniform_work_group_size: 1
    .uses_dynamic_stack: false
    .vgpr_count:     155
    .vgpr_spill_count: 0
    .wavefront_size: 64
amdhsa.target:   amdgcn-amd-amdhsa--gfx906
amdhsa.version:
  - 1
  - 2
...

	.end_amdgpu_metadata
